;; amdgpu-corpus repo=zjin-lcf/HeCBench kind=compiled arch=gfx1250 opt=O3
	.amdgcn_target "amdgcn-amd-amdhsa--gfx1250"
	.amdhsa_code_object_version 6
	.text
	.protected	_Z22target_inner_3d_kernelxxxiiixxxxxxxxxffffffffffffffffPKfPfS0_S0_S0_ ; -- Begin function _Z22target_inner_3d_kernelxxxiiixxxxxxxxxffffffffffffffffPKfPfS0_S0_S0_
	.globl	_Z22target_inner_3d_kernelxxxiiixxxxxxxxxffffffffffffffffPKfPfS0_S0_S0_
	.p2align	8
	.type	_Z22target_inner_3d_kernelxxxiiixxxxxxxxxffffffffffffffffPKfPfS0_S0_S0_,@function
_Z22target_inner_3d_kernelxxxiiixxxxxxxxxffffffffffffffffPKfPfS0_S0_S0_: ; @_Z22target_inner_3d_kernelxxxiiixxxxxxxxxffffffffffffffffPKfPfS0_S0_S0_
; %bb.0:
	s_clause 0x1
	s_load_b64 s[20:21], s[0:1], 0xe4
	s_load_b64 s[2:3], s[0:1], 0xb0
	v_bfe_u32 v4, v0, 20, 10
	v_bfe_u32 v2, v0, 10, 10
	v_and_b32_e32 v0, 0x3ff, v0
	s_mov_b32 s4, exec_lo
	s_delay_alu instid0(VALU_DEP_3) | instskip(NEXT) | instid1(VALU_DEP_2)
	v_dual_mov_b32 v5, 0 :: v_dual_lshlrev_b32 v8, 10, v4
	v_or3_b32 v1, v4, v2, v0
	s_delay_alu instid0(VALU_DEP_2) | instskip(NEXT) | instid1(VALU_DEP_1)
	v_lshl_add_u32 v7, v2, 6, v8
	v_lshl_add_u32 v6, v0, 2, v7
	s_wait_kmcnt 0x0
	s_and_b32 s21, s21, 0xffff
	ds_store_b32 v6, v5
	v_cmpx_gt_u32_e32 8, v1
; %bb.1:
	ds_store_b32 v6, v5 offset:8736
; %bb.2:
	s_or_b32 exec_lo, exec_lo, s4
	s_load_b512 s[4:19], s[0:1], 0x28
	s_and_b32 s22, s21, 0xffff
	s_bfe_u32 s21, ttmp6, 0x4000c
	s_bfe_u32 s23, ttmp6, 0x40010
	s_add_co_i32 s21, s21, 1
	s_lshr_b32 s24, s20, 16
	s_and_b32 s25, s20, 0xffff
	s_and_b32 s20, ttmp6, 15
	s_mul_i32 s21, ttmp9, s21
	s_and_b32 s26, ttmp7, 0xffff
	s_add_co_i32 s23, s23, 1
	s_add_co_i32 s27, s20, s21
	s_mul_i32 s20, s26, s23
	s_bfe_u32 s23, ttmp6, 0x40014
	s_bfe_u32 s21, ttmp6, 0x40004
	s_lshr_b32 s28, ttmp7, 16
	s_add_co_i32 s23, s23, 1
	s_add_co_i32 s29, s21, s20
	s_mul_i32 s20, s28, s23
	s_bfe_u32 s21, ttmp6, 0x40008
	s_getreg_b32 s23, hwreg(HW_REG_IB_STS2, 6, 4)
	s_add_co_i32 s30, s21, s20
	s_cmp_eq_u32 s23, 0
	v_dual_lshlrev_b32 v1, 1, v4 :: v_dual_mov_b32 v3, v5
	s_cselect_b32 s28, s28, s30
	s_load_b64 s[20:21], s[0:1], 0x1c
	s_mov_b32 s23, 0
	s_mul_i32 s22, s28, s22
	v_and_b32_e32 v9, 0x7f8, v1
	s_wait_kmcnt 0x0
	s_add_nc_u64 s[4:5], s[22:23], s[4:5]
	s_cselect_b32 s26, s26, s29
	v_add_nc_u64_e32 v[10:11], s[4:5], v[4:5]
	s_mul_i32 s4, s26, s24
	s_mov_b32 s5, s23
	v_dual_add_nc_u32 v12, -4, v9 :: v_dual_lshlrev_b32 v1, 1, v2
	s_add_nc_u64 s[4:5], s[4:5], s[8:9]
	s_load_b64 s[8:9], s[0:1], 0x68
	s_delay_alu instid0(VALU_DEP_2)
	v_add_nc_u64_e32 v[14:15], s[16:17], v[10:11]
	v_add_nc_u64_e32 v[16:17], s[4:5], v[2:3]
	v_and_b32_e32 v3, 0x7f8, v1
	v_ashrrev_i32_e32 v13, 31, v12
	s_cselect_b32 s4, ttmp9, s27
	s_wait_dscnt 0x0
	s_mul_i32 s22, s4, s25
	v_add_nc_u32_e32 v22, -4, v3
	v_add_nc_u64_e32 v[12:13], v[14:15], v[12:13]
	v_add_nc_u64_e32 v[18:19], s[18:19], v[16:17]
	v_mad_nc_u64_u32 v[20:21], v14, s20, v[16:17]
	s_ashr_i32 s5, s20, 31
	v_ashrrev_i32_e32 v23, 31, v22
	s_barrier_signal -1
	s_barrier_wait -1
	s_delay_alu instid0(VALU_DEP_3)
	v_mad_nc_u64_u32 v[18:19], v12, s20, v[18:19]
	v_cmp_gt_i64_e32 vcc_lo, s[6:7], v[10:11]
	v_lshl_add_u32 v8, v9, 10, v8
	v_lshlrev_b32_e32 v3, 6, v3
	v_mad_u32 v1, v15, s20, v21
	v_mad_u32 v4, v13, s20, v19
	s_delay_alu instid0(VALU_DEP_2) | instskip(SKIP_2) | instid1(VALU_DEP_4)
	v_mad_u32 v21, v14, s5, v1
	v_mov_b32_e32 v1, v5
	v_add_nc_u64_e32 v[14:15], s[18:19], v[22:23]
	v_mad_u32 v19, v12, s5, v4
	s_add_nc_u64 s[4:5], s[22:23], s[12:13]
	s_ashr_i32 s13, s21, 31
	s_mov_b32 s12, s21
	v_add_nc_u64_e32 v[12:13], s[4:5], v[0:1]
	s_delay_alu instid0(VALU_DEP_3) | instskip(SKIP_3) | instid1(VALU_DEP_4)
	v_add_nc_u64_e32 v[4:5], v[14:15], v[20:21]
	v_add_nc_u64_e32 v[14:15], s[18:19], v[20:21]
	v_lshlrev_b32_e32 v0, 2, v0
	v_mul_u64_e32 v[18:19], s[12:13], v[18:19]
	v_mul_u64_e32 v[20:21], s[12:13], v[4:5]
	s_delay_alu instid0(VALU_DEP_4) | instskip(SKIP_1) | instid1(VALU_DEP_2)
	v_mad_nc_u64_u32 v[4:5], v14, s21, v[12:13]
	v_lshlrev_b64_e32 v[22:23], 2, v[12:13]
	v_mad_u32 v1, v15, s21, v5
	s_delay_alu instid0(VALU_DEP_1) | instskip(SKIP_2) | instid1(VALU_DEP_3)
	v_mad_u32 v5, v14, s13, v1
	v_lshl_add_u64 v[14:15], v[18:19], 2, s[2:3]
	v_lshl_add_u64 v[18:19], v[20:21], 2, s[2:3]
	;; [unrolled: 1-line block ×3, first 2 shown]
	s_wait_kmcnt 0x0
	s_lshl_b64 s[2:3], s[8:9], 2
	v_add_nc_u64_e32 v[14:15], v[14:15], v[22:23]
	v_add_nc_u64_e32 v[18:19], v[18:19], v[22:23]
	;; [unrolled: 1-line block ×3, first 2 shown]
	s_delay_alu instid0(VALU_DEP_3) | instskip(NEXT) | instid1(VALU_DEP_3)
	v_add_nc_u64_e32 v[14:15], s[2:3], v[14:15]
	v_add_nc_u64_e32 v[18:19], s[2:3], v[18:19]
	s_clause 0x3
	global_load_b32 v1, v[14:15], off
	global_load_b32 v22, v[18:19], off
	global_load_b32 v23, v[20:21], off offset:-16
	global_load_b32 v24, v[20:21], off offset:16
	v_cmp_gt_i64_e64 s2, s[10:11], v[16:17]
	s_wait_xcnt 0x3
	v_lshlrev_b32_e32 v14, 6, v2
	v_cmp_gt_i64_e64 s3, s[14:15], v[12:13]
	v_add_nc_u32_e32 v2, 0x1000, v6
	s_delay_alu instid0(VALU_DEP_3)
	v_add3_u32 v8, v8, v14, v0
	v_add3_u32 v0, v7, v3, v0
	s_and_b32 s2, vcc_lo, s2
	s_wait_loadcnt 0x3
	ds_store_b32 v8, v1 offset:272
	s_wait_loadcnt 0x2
	ds_store_b32 v0, v22 offset:4112
	s_wait_loadcnt 0x0
	ds_store_2addr_b32 v2, v23, v24 offset0:64 offset1:72
	s_and_b32 s2, s2, s3
	s_wait_dscnt 0x0
	s_barrier_signal -1
	s_barrier_wait -1
	s_and_saveexec_b32 s3, s2
	s_cbranch_execz .LBB0_4
; %bb.3:
	s_clause 0x1
	s_load_b128 s[4:7], s[0:1], 0xb8
	s_load_b128 s[12:15], s[0:1], 0x9c
	v_add_nc_u32_e32 v0, 0x1110, v6
	v_add_nc_u64_e32 v[4:5], s[8:9], v[4:5]
	v_add_nc_u32_e32 v7, 0x1118, v6
	v_add_nc_u32_e32 v14, 0x1100, v6
	ds_load_2addr_b32 v[0:1], v0 offset1:1
	v_add_nc_u32_e32 v3, 0x1108, v6
	v_lshlrev_b64_e32 v[4:5], 2, v[4:5]
	s_wait_kmcnt 0x0
	s_delay_alu instid0(VALU_DEP_1)
	v_add_nc_u64_e32 v[8:9], s[6:7], v[4:5]
	v_add_nc_u64_e32 v[4:5], s[4:5], v[4:5]
	s_load_b256 s[4:11], s[0:1], 0x7c
	s_wait_dscnt 0x0
	v_mov_b32_e32 v16, v1
	ds_load_2addr_b32 v[10:11], v3 offset1:1
	ds_load_2addr_b32 v[12:13], v7 offset1:1
	;; [unrolled: 1-line block ×3, first 2 shown]
	global_load_b32 v1, v[8:9], off
	global_load_b32 v32, v[4:5], off
	v_add_nc_u32_e32 v3, 16, v6
	s_wait_xcnt 0x1
	ds_load_2addr_stride64_b32 v[8:9], v3 offset0:18 offset1:21
	ds_load_2addr_b32 v[18:19], v2 offset0:72 offset1:84
	ds_load_2addr_stride64_b32 v[20:21], v3 offset0:9 offset1:13
	ds_load_2addr_b32 v[22:23], v2 offset0:36 offset1:52
	ds_load_2addr_b32 v[30:31], v2 offset0:100 offset1:116
	s_load_b32 s0, s[0:1], 0xac
	s_wait_dscnt 0x3
	v_dual_mov_b32 v26, v9 :: v_dual_mov_b32 v27, v19
	s_wait_dscnt 0x2
	v_mov_b32_e32 v28, v21
	ds_load_2addr_stride64_b32 v[24:25], v3 offset0:25 offset1:29
	s_wait_dscnt 0x2
	s_wait_kmcnt 0x0
	v_dual_mov_b32 v29, v23 :: v_dual_mov_b32 v21, s6
	v_mov_b32_e32 v23, v10
	s_delay_alu instid0(VALU_DEP_2) | instskip(SKIP_1) | instid1(VALU_DEP_1)
	v_pk_add_f32 v[26:27], v[26:27], v[28:29]
	v_dual_mov_b32 v28, s5 :: v_dual_mov_b32 v29, s9
	v_pk_mul_f32 v[26:27], v[28:29], v[26:27]
	v_dual_mov_b32 v28, v11 :: v_dual_mov_b32 v29, v20
	s_delay_alu instid0(VALU_DEP_2) | instskip(SKIP_1) | instid1(VALU_DEP_1)
	v_dual_mov_b32 v20, s13 :: v_dual_fma_f32 v7, s4, v0, v26
	s_wait_dscnt 0x0
	v_dual_mov_b32 v17, v24 :: v_dual_add_f32 v7, v7, v27
	s_delay_alu instid0(VALU_DEP_1)
	v_pk_add_f32 v[16:17], v[16:17], v[28:29]
	ds_load_2addr_stride64_b32 v[28:29], v3 offset0:1 offset1:5
	ds_load_2addr_b32 v[2:3], v2 offset0:4 offset1:20
	v_pk_mul_f32 v[16:17], v[20:21], v[16:17]
	v_dual_mov_b32 v20, v30 :: v_dual_mov_b32 v21, v12
	v_dual_mov_b32 v30, v25 :: v_dual_mov_b32 v12, v15
	s_delay_alu instid0(VALU_DEP_3) | instskip(NEXT) | instid1(VALU_DEP_3)
	v_add_f32_e32 v7, v7, v16
	v_pk_add_f32 v[10:11], v[20:21], v[22:23]
	v_dual_mov_b32 v20, s10 :: v_dual_mov_b32 v21, s14
	s_delay_alu instid0(VALU_DEP_3)
	v_add_f32_e32 v9, v7, v17
	ds_load_b32 v7, v6 offset:8464
	v_mov_b32_e32 v6, v13
	v_pk_mul_f32 v[10:11], v[20:21], v[10:11]
	s_wait_dscnt 0x1
	v_dual_mov_b32 v16, v29 :: v_dual_mov_b32 v17, v3
	v_dual_mov_b32 v20, s7 :: v_dual_mov_b32 v21, s11
	s_delay_alu instid0(VALU_DEP_3) | instskip(NEXT) | instid1(VALU_DEP_3)
	v_dual_add_f32 v3, v9, v10 :: v_dual_mov_b32 v13, v28
	v_pk_add_f32 v[16:17], v[30:31], v[16:17]
	s_delay_alu instid0(VALU_DEP_2) | instskip(NEXT) | instid1(VALU_DEP_2)
	v_dual_mov_b32 v9, v18 :: v_dual_add_f32 v3, v3, v11
	v_pk_mul_f32 v[10:11], v[20:21], v[16:17]
	s_delay_alu instid0(VALU_DEP_1) | instskip(SKIP_3) | instid1(VALU_DEP_3)
	v_add_f32_e32 v3, v3, v10
	s_wait_dscnt 0x0
	v_pk_add_f32 v[6:7], v[6:7], v[12:13]
	v_dual_mov_b32 v12, s15 :: v_dual_mov_b32 v13, s8
	v_dual_add_f32 v10, v3, v11 :: v_dual_mov_b32 v3, v14
	s_delay_alu instid0(VALU_DEP_2) | instskip(NEXT) | instid1(VALU_DEP_2)
	v_pk_mul_f32 v[6:7], v[12:13], v[6:7]
	v_pk_add_f32 v[2:3], v[8:9], v[2:3]
	s_delay_alu instid0(VALU_DEP_2) | instskip(NEXT) | instid1(VALU_DEP_1)
	v_dual_mov_b32 v8, s12 :: v_dual_add_f32 v6, v10, v6
	v_dual_mov_b32 v9, s0 :: v_dual_add_f32 v6, v6, v7
	s_delay_alu instid0(VALU_DEP_1) | instskip(NEXT) | instid1(VALU_DEP_1)
	v_pk_mul_f32 v[2:3], v[8:9], v[2:3]
	v_add_f32_e32 v2, v6, v2
	s_delay_alu instid0(VALU_DEP_1) | instskip(SKIP_1) | instid1(VALU_DEP_1)
	v_dual_add_f32 v3, v2, v3 :: v_dual_mov_b32 v2, 2.0
	s_wait_loadcnt 0x1
	v_pk_mul_f32 v[0:1], v[0:1], v[2:3]
	s_delay_alu instid0(VALU_DEP_1) | instskip(SKIP_1) | instid1(VALU_DEP_1)
	v_add_f32_e32 v0, v0, v1
	s_wait_loadcnt 0x0
	v_sub_f32_e32 v0, v0, v32
	global_store_b32 v[4:5], v0, off
.LBB0_4:
	s_endpgm
	.section	.rodata,"a",@progbits
	.p2align	6, 0x0
	.amdhsa_kernel _Z22target_inner_3d_kernelxxxiiixxxxxxxxxffffffffffffffffPKfPfS0_S0_S0_
		.amdhsa_group_segment_fixed_size 16384
		.amdhsa_private_segment_fixed_size 0
		.amdhsa_kernarg_size 472
		.amdhsa_user_sgpr_count 2
		.amdhsa_user_sgpr_dispatch_ptr 0
		.amdhsa_user_sgpr_queue_ptr 0
		.amdhsa_user_sgpr_kernarg_segment_ptr 1
		.amdhsa_user_sgpr_dispatch_id 0
		.amdhsa_user_sgpr_kernarg_preload_length 0
		.amdhsa_user_sgpr_kernarg_preload_offset 0
		.amdhsa_user_sgpr_private_segment_size 0
		.amdhsa_wavefront_size32 1
		.amdhsa_uses_dynamic_stack 0
		.amdhsa_enable_private_segment 0
		.amdhsa_system_sgpr_workgroup_id_x 1
		.amdhsa_system_sgpr_workgroup_id_y 1
		.amdhsa_system_sgpr_workgroup_id_z 1
		.amdhsa_system_sgpr_workgroup_info 0
		.amdhsa_system_vgpr_workitem_id 2
		.amdhsa_next_free_vgpr 33
		.amdhsa_next_free_sgpr 31
		.amdhsa_named_barrier_count 0
		.amdhsa_reserve_vcc 1
		.amdhsa_float_round_mode_32 0
		.amdhsa_float_round_mode_16_64 0
		.amdhsa_float_denorm_mode_32 3
		.amdhsa_float_denorm_mode_16_64 3
		.amdhsa_fp16_overflow 0
		.amdhsa_memory_ordered 1
		.amdhsa_forward_progress 1
		.amdhsa_inst_pref_size 12
		.amdhsa_round_robin_scheduling 0
		.amdhsa_exception_fp_ieee_invalid_op 0
		.amdhsa_exception_fp_denorm_src 0
		.amdhsa_exception_fp_ieee_div_zero 0
		.amdhsa_exception_fp_ieee_overflow 0
		.amdhsa_exception_fp_ieee_underflow 0
		.amdhsa_exception_fp_ieee_inexact 0
		.amdhsa_exception_int_div_zero 0
	.end_amdhsa_kernel
	.text
.Lfunc_end0:
	.size	_Z22target_inner_3d_kernelxxxiiixxxxxxxxxffffffffffffffffPKfPfS0_S0_S0_, .Lfunc_end0-_Z22target_inner_3d_kernelxxxiiixxxxxxxxxffffffffffffffffPKfPfS0_S0_S0_
                                        ; -- End function
	.set _Z22target_inner_3d_kernelxxxiiixxxxxxxxxffffffffffffffffPKfPfS0_S0_S0_.num_vgpr, 33
	.set _Z22target_inner_3d_kernelxxxiiixxxxxxxxxffffffffffffffffPKfPfS0_S0_S0_.num_agpr, 0
	.set _Z22target_inner_3d_kernelxxxiiixxxxxxxxxffffffffffffffffPKfPfS0_S0_S0_.numbered_sgpr, 31
	.set _Z22target_inner_3d_kernelxxxiiixxxxxxxxxffffffffffffffffPKfPfS0_S0_S0_.num_named_barrier, 0
	.set _Z22target_inner_3d_kernelxxxiiixxxxxxxxxffffffffffffffffPKfPfS0_S0_S0_.private_seg_size, 0
	.set _Z22target_inner_3d_kernelxxxiiixxxxxxxxxffffffffffffffffPKfPfS0_S0_S0_.uses_vcc, 1
	.set _Z22target_inner_3d_kernelxxxiiixxxxxxxxxffffffffffffffffPKfPfS0_S0_S0_.uses_flat_scratch, 0
	.set _Z22target_inner_3d_kernelxxxiiixxxxxxxxxffffffffffffffffPKfPfS0_S0_S0_.has_dyn_sized_stack, 0
	.set _Z22target_inner_3d_kernelxxxiiixxxxxxxxxffffffffffffffffPKfPfS0_S0_S0_.has_recursion, 0
	.set _Z22target_inner_3d_kernelxxxiiixxxxxxxxxffffffffffffffffPKfPfS0_S0_S0_.has_indirect_call, 0
	.section	.AMDGPU.csdata,"",@progbits
; Kernel info:
; codeLenInByte = 1436
; TotalNumSgprs: 33
; NumVgprs: 33
; ScratchSize: 0
; MemoryBound: 0
; FloatMode: 240
; IeeeMode: 1
; LDSByteSize: 16384 bytes/workgroup (compile time only)
; SGPRBlocks: 0
; VGPRBlocks: 2
; NumSGPRsForWavesPerEU: 33
; NumVGPRsForWavesPerEU: 33
; NamedBarCnt: 0
; Occupancy: 16
; WaveLimiterHint : 0
; COMPUTE_PGM_RSRC2:SCRATCH_EN: 0
; COMPUTE_PGM_RSRC2:USER_SGPR: 2
; COMPUTE_PGM_RSRC2:TRAP_HANDLER: 0
; COMPUTE_PGM_RSRC2:TGID_X_EN: 1
; COMPUTE_PGM_RSRC2:TGID_Y_EN: 1
; COMPUTE_PGM_RSRC2:TGID_Z_EN: 1
; COMPUTE_PGM_RSRC2:TIDIG_COMP_CNT: 2
	.text
	.protected	_Z20target_pml_3d_kernelxxxiiixxxxxxxxxffffffffffffffffPKfPfS0_S1_S0_ ; -- Begin function _Z20target_pml_3d_kernelxxxiiixxxxxxxxxffffffffffffffffPKfPfS0_S1_S0_
	.globl	_Z20target_pml_3d_kernelxxxiiixxxxxxxxxffffffffffffffffPKfPfS0_S1_S0_
	.p2align	8
	.type	_Z20target_pml_3d_kernelxxxiiixxxxxxxxxffffffffffffffffPKfPfS0_S1_S0_,@function
_Z20target_pml_3d_kernelxxxiiixxxxxxxxxffffffffffffffffPKfPfS0_S1_S0_: ; @_Z20target_pml_3d_kernelxxxiiixxxxxxxxxffffffffffffffffPKfPfS0_S1_S0_
; %bb.0:
	s_clause 0x1
	s_load_b64 s[20:21], s[0:1], 0xe4
	s_load_b64 s[2:3], s[0:1], 0xb0
	v_bfe_u32 v4, v0, 20, 10
	v_bfe_u32 v10, v0, 10, 10
	v_and_b32_e32 v12, 0x3ff, v0
	s_mov_b32 s4, exec_lo
	s_delay_alu instid0(VALU_DEP_3) | instskip(NEXT) | instid1(VALU_DEP_2)
	v_dual_mov_b32 v5, 0 :: v_dual_lshlrev_b32 v16, 10, v4
	v_or3_b32 v0, v4, v10, v12
	s_delay_alu instid0(VALU_DEP_2) | instskip(NEXT) | instid1(VALU_DEP_1)
	v_lshl_add_u32 v15, v10, 6, v16
	v_lshl_add_u32 v14, v12, 2, v15
	s_wait_kmcnt 0x0
	s_and_b32 s21, s21, 0xffff
	ds_store_b32 v14, v5
	v_cmpx_gt_u32_e32 8, v0
; %bb.1:
	ds_store_b32 v14, v5 offset:8736
; %bb.2:
	s_or_b32 exec_lo, exec_lo, s4
	s_load_b512 s[4:19], s[0:1], 0x28
	s_and_b32 s22, s21, 0xffff
	s_bfe_u32 s21, ttmp6, 0x4000c
	s_bfe_u32 s23, ttmp6, 0x40010
	s_add_co_i32 s21, s21, 1
	s_lshr_b32 s24, s20, 16
	s_and_b32 s25, s20, 0xffff
	s_and_b32 s20, ttmp6, 15
	s_mul_i32 s21, ttmp9, s21
	s_and_b32 s26, ttmp7, 0xffff
	s_add_co_i32 s23, s23, 1
	s_add_co_i32 s27, s20, s21
	s_mul_i32 s20, s26, s23
	s_bfe_u32 s23, ttmp6, 0x40014
	s_bfe_u32 s21, ttmp6, 0x40004
	s_lshr_b32 s28, ttmp7, 16
	s_add_co_i32 s23, s23, 1
	s_add_co_i32 s29, s21, s20
	s_mul_i32 s20, s28, s23
	s_bfe_u32 s21, ttmp6, 0x40008
	s_getreg_b32 s23, hwreg(HW_REG_IB_STS2, 6, 4)
	s_add_co_i32 s30, s21, s20
	s_cmp_eq_u32 s23, 0
	v_dual_mov_b32 v11, v5 :: v_dual_lshlrev_b32 v0, 1, v4
	s_cselect_b32 s28, s28, s30
	s_load_b64 s[20:21], s[0:1], 0x1c
	s_mov_b32 s23, 0
	s_mul_i32 s22, s28, s22
	v_and_b32_e32 v17, 0x7f8, v0
	s_wait_kmcnt 0x0
	s_add_nc_u64 s[4:5], s[22:23], s[4:5]
	s_cselect_b32 s26, s26, s29
	v_add_nc_u64_e32 v[18:19], s[4:5], v[4:5]
	s_mul_i32 s4, s26, s24
	s_mov_b32 s5, s23
	v_dual_add_nc_u32 v0, -4, v17 :: v_dual_lshlrev_b32 v4, 1, v10
	s_add_nc_u64 s[4:5], s[4:5], s[8:9]
	v_mov_b32_e32 v13, v5
	s_delay_alu instid0(VALU_DEP_3)
	v_add_nc_u64_e32 v[2:3], s[16:17], v[18:19]
	v_add_nc_u64_e32 v[20:21], s[4:5], v[10:11]
	v_and_b32_e32 v11, 0x7f8, v4
	v_ashrrev_i32_e32 v1, 31, v0
	s_cselect_b32 s4, ttmp9, s27
	s_wait_dscnt 0x0
	s_mul_i32 s22, s4, s25
	v_add_nc_u32_e32 v24, -4, v11
	v_add_nc_u64_e32 v[6:7], v[2:3], v[0:1]
	v_add_nc_u64_e32 v[0:1], s[18:19], v[20:21]
	v_mad_nc_u64_u32 v[8:9], v2, s20, v[20:21]
	s_ashr_i32 s17, s20, 31
	v_ashrrev_i32_e32 v25, 31, v24
	s_ashr_i32 s5, s21, 31
	s_mov_b32 s4, s21
	s_add_nc_u64 s[8:9], s[22:23], s[12:13]
	v_mad_nc_u64_u32 v[22:23], v6, s20, v[0:1]
	v_add_nc_u64_e32 v[24:25], s[18:19], v[24:25]
	s_load_b64 s[12:13], s[0:1], 0x68
	s_barrier_signal -1
	s_barrier_wait -1
	v_mad_u32 v4, v3, s20, v9
	v_cmp_gt_i64_e32 vcc_lo, s[6:7], v[18:19]
	v_lshl_add_u32 v16, v17, 10, v16
	v_lshlrev_b32_e32 v11, 6, v11
	v_mad_u32 v7, v7, s20, v23
	v_mad_u32 v9, v2, s17, v4
	s_delay_alu instid0(VALU_DEP_2) | instskip(NEXT) | instid1(VALU_DEP_2)
	v_mad_u32 v23, v6, s17, v7
	v_add_nc_u64_e32 v[4:5], v[24:25], v[8:9]
	v_add_nc_u64_e32 v[24:25], s[8:9], v[12:13]
	v_add_nc_u64_e32 v[6:7], s[18:19], v[8:9]
	s_wait_kmcnt 0x0
	s_lshl_b64 s[8:9], s[12:13], 2
	v_lshlrev_b32_e32 v12, 2, v12
	v_mul_u64_e32 v[22:23], s[4:5], v[22:23]
	v_mul_u64_e32 v[26:27], s[4:5], v[4:5]
	v_lshlrev_b64_e32 v[4:5], 2, v[24:25]
	v_mad_nc_u64_u32 v[8:9], v6, s21, v[24:25]
	v_add3_u32 v11, v15, v11, v12
	s_delay_alu instid0(VALU_DEP_2) | instskip(NEXT) | instid1(VALU_DEP_1)
	v_mad_u32 v9, v7, s21, v9
	v_mad_u32 v9, v6, s5, v9
	v_lshl_add_u64 v[22:23], v[22:23], 2, s[2:3]
	v_lshl_add_u64 v[26:27], v[26:27], 2, s[2:3]
	s_delay_alu instid0(VALU_DEP_3) | instskip(NEXT) | instid1(VALU_DEP_3)
	v_lshl_add_u64 v[28:29], v[8:9], 2, s[2:3]
	v_add_nc_u64_e32 v[22:23], v[22:23], v[4:5]
	s_delay_alu instid0(VALU_DEP_3)
	v_add_nc_u64_e32 v[26:27], v[26:27], v[4:5]
	v_cmp_gt_i64_e64 s2, s[10:11], v[20:21]
	v_cmp_gt_i64_e64 s3, s[14:15], v[24:25]
	v_add_nc_u64_e32 v[28:29], s[8:9], v[28:29]
	v_add_nc_u64_e32 v[22:23], s[8:9], v[22:23]
	;; [unrolled: 1-line block ×3, first 2 shown]
	s_clause 0x3
	global_load_b32 v13, v[22:23], off
	global_load_b32 v30, v[26:27], off
	global_load_b32 v31, v[28:29], off offset:-16
	global_load_b32 v32, v[28:29], off offset:16
	s_wait_xcnt 0x3
	v_lshlrev_b32_e32 v22, 6, v10
	v_add_nc_u32_e32 v10, 0x1000, v14
	s_and_b32 s2, vcc_lo, s2
	s_delay_alu instid0(SALU_CYCLE_1) | instskip(NEXT) | instid1(VALU_DEP_2)
	s_and_b32 s2, s2, s3
	v_add3_u32 v16, v16, v22, v12
	s_wait_loadcnt 0x3
	ds_store_b32 v16, v13 offset:272
	s_wait_loadcnt 0x2
	ds_store_b32 v11, v30 offset:4112
	s_wait_loadcnt 0x0
	ds_store_2addr_b32 v10, v31, v32 offset0:64 offset1:72
	s_wait_dscnt 0x0
	s_barrier_signal -1
	s_barrier_wait -1
	s_and_saveexec_b32 s3, s2
	s_cbranch_execz .LBB1_4
; %bb.3:
	s_mov_b32 s16, s20
	v_mad_nc_u64_u32 v[16:17], s4, v6, s[4:5]
	v_mad_nc_u64_u32 v[12:13], s16, v2, s[16:17]
	s_lshl_b64 s[2:3], s[16:17], 1
	v_add_nc_u32_e32 v15, 0x1108, v14
	s_delay_alu instid0(VALU_DEP_2) | instskip(NEXT) | instid1(VALU_DEP_1)
	v_mad_u32 v2, s17, v2, v13
	v_mad_u32 v13, s16, v3, v2
	s_load_b256 s[16:23], s[0:1], 0xb8
	s_delay_alu instid0(VALU_DEP_1) | instskip(SKIP_1) | instid1(VALU_DEP_2)
	v_sub_nc_u64_e64 v[2:3], v[12:13], s[2:3]
	v_add_nc_u64_e32 v[12:13], v[0:1], v[12:13]
	v_add_nc_u64_e32 v[0:1], v[0:1], v[2:3]
	v_add_nc_u64_e32 v[2:3], -1, v[6:7]
	s_delay_alu instid0(VALU_DEP_3) | instskip(SKIP_1) | instid1(VALU_DEP_4)
	v_mul_u64_e32 v[12:13], s[4:5], v[12:13]
	v_mad_u32 v6, s5, v6, v17
	v_mul_u64_e32 v[0:1], s[4:5], v[0:1]
	s_delay_alu instid0(VALU_DEP_4) | instskip(NEXT) | instid1(VALU_DEP_3)
	v_mul_u64_e32 v[2:3], s[4:5], v[2:3]
	v_mad_u32 v17, s4, v7, v6
	s_wait_kmcnt 0x0
	v_lshl_add_u64 v[6:7], v[8:9], 2, s[22:23]
	v_add_nc_u64_e32 v[8:9], s[12:13], v[8:9]
	s_delay_alu instid0(VALU_DEP_2) | instskip(NEXT) | instid1(VALU_DEP_2)
	v_add_nc_u64_e32 v[6:7], s[8:9], v[6:7]
	v_lshlrev_b64_e32 v[8:9], 2, v[8:9]
	v_lshl_add_u64 v[16:17], v[16:17], 2, s[22:23]
	s_delay_alu instid0(VALU_DEP_2) | instskip(NEXT) | instid1(VALU_DEP_2)
	v_add_nc_u64_e32 v[22:23], s[18:19], v[8:9]
	v_add_nc_u64_e32 v[16:17], v[16:17], v[4:5]
	v_lshl_add_u64 v[12:13], v[12:13], 2, s[22:23]
	s_delay_alu instid0(VALU_DEP_2) | instskip(SKIP_2) | instid1(VALU_DEP_4)
	v_add_nc_u64_e32 v[16:17], s[8:9], v[16:17]
	v_lshl_add_u64 v[0:1], v[0:1], 2, s[22:23]
	v_lshl_add_u64 v[2:3], v[2:3], 2, s[22:23]
	v_add_nc_u64_e32 v[12:13], v[12:13], v[4:5]
	s_delay_alu instid0(VALU_DEP_3) | instskip(NEXT) | instid1(VALU_DEP_3)
	v_add_nc_u64_e32 v[18:19], v[0:1], v[4:5]
	v_add_nc_u64_e32 v[4:5], v[2:3], v[4:5]
	global_load_b96 v[0:2], v[6:7], off offset:-4
	s_wait_xcnt 0x0
	v_add_nc_u64_e32 v[6:7], s[16:17], v[8:9]
	v_add_nc_u64_e32 v[12:13], s[8:9], v[12:13]
	v_add_nc_u32_e32 v3, 16, v14
	v_add_nc_u64_e32 v[18:19], s[8:9], v[18:19]
	v_add_nc_u64_e32 v[20:21], s[8:9], v[4:5]
	;; [unrolled: 1-line block ×3, first 2 shown]
	s_load_b512 s[4:19], s[0:1], 0x70
	v_add_nc_u32_e32 v30, 0x1118, v14
	s_clause 0x3
	global_load_b32 v8, v[12:13], off
	global_load_b32 v24, v[18:19], off
	;; [unrolled: 1-line block ×7, first 2 shown]
	s_wait_xcnt 0x6
	ds_load_2addr_stride64_b32 v[12:13], v3 offset0:18 offset1:21
	s_wait_xcnt 0x4
	ds_load_2addr_stride64_b32 v[16:17], v3 offset0:9 offset1:13
	ds_load_2addr_b32 v[18:19], v10 offset0:72 offset1:84
	s_wait_xcnt 0x3
	ds_load_2addr_b32 v[20:21], v10 offset0:36 offset1:52
	v_add_nc_u32_e32 v11, 0x1110, v14
	s_wait_xcnt 0x1
	ds_load_2addr_b32 v[22:23], v10 offset0:100 offset1:116
	ds_load_2addr_b32 v[26:27], v11 offset1:1
	ds_load_2addr_b32 v[28:29], v15 offset1:1
	;; [unrolled: 1-line block ×3, first 2 shown]
	ds_load_2addr_stride64_b32 v[32:33], v3 offset0:25 offset1:29
	ds_load_2addr_b32 v[10:11], v10 offset0:4 offset1:20
	s_wait_kmcnt 0x0
	v_dual_mov_b32 v43, s17 :: v_dual_add_nc_u32 v36, 0x1100, v14
	s_wait_dscnt 0x8
	v_dual_mov_b32 v42, s13 :: v_dual_add_f32 v15, v13, v17
	ds_load_2addr_stride64_b32 v[34:35], v3 offset0:1 offset1:5
	s_wait_dscnt 0x6
	v_dual_mov_b32 v38, v22 :: v_dual_mov_b32 v40, v20
	s_wait_dscnt 0x4
	v_dual_add_f32 v20, v27, v29 :: v_dual_mov_b32 v41, v28
	s_wait_dscnt 0x3
	v_dual_mul_f32 v3, s8, v15 :: v_dual_mov_b32 v39, v30
	ds_load_b32 v15, v14 offset:8464
	ds_load_2addr_b32 v[36:37], v36 offset1:1
	s_wait_dscnt 0x4
	v_dual_add_f32 v14, v19, v21 :: v_dual_mov_b32 v22, v33
	v_fmac_f32_e32 v3, s7, v26
	v_pk_add_f32 v[38:39], v[38:39], v[40:41]
	s_wait_dscnt 0x3
	s_delay_alu instid0(VALU_DEP_2) | instskip(SKIP_1) | instid1(VALU_DEP_3)
	v_dual_mov_b32 v41, v11 :: v_dual_fmac_f32 v3, s12, v14
	v_add_f32_e32 v14, v32, v16
	v_pk_mul_f32 v[32:33], v[42:43], v[38:39]
	s_delay_alu instid0(VALU_DEP_3) | instskip(SKIP_2) | instid1(VALU_DEP_2)
	v_dual_mov_b32 v38, s10 :: v_dual_fmac_f32 v3, s16, v20
	s_wait_dscnt 0x2
	v_dual_mov_b32 v40, v35 :: v_dual_mov_b32 v20, v17
	v_dual_fmac_f32 v3, s9, v14 :: v_dual_mov_b32 v39, s14
	s_delay_alu instid0(VALU_DEP_2) | instskip(SKIP_2) | instid1(VALU_DEP_3)
	v_pk_add_f32 v[22:23], v[22:23], v[40:41]
	s_wait_dscnt 0x0
	v_dual_mov_b32 v14, v31 :: v_dual_mov_b32 v30, v37
	v_dual_add_f32 v3, v3, v32 :: v_dual_mov_b32 v31, v34
	s_delay_alu instid0(VALU_DEP_3) | instskip(SKIP_1) | instid1(VALU_DEP_3)
	v_pk_mul_f32 v[22:23], v[38:39], v[22:23]
	v_dual_mov_b32 v32, s18 :: v_dual_mov_b32 v11, v36
	v_dual_add_f32 v3, v3, v33 :: v_dual_mov_b32 v33, s11
	s_delay_alu instid0(VALU_DEP_4) | instskip(SKIP_1) | instid1(VALU_DEP_3)
	v_pk_add_f32 v[14:15], v[14:15], v[30:31]
	v_dual_mov_b32 v31, v18 :: v_dual_mov_b32 v30, v12
	v_dual_add_f32 v3, v3, v22 :: v_dual_mov_b32 v18, v13
	s_delay_alu instid0(VALU_DEP_3) | instskip(SKIP_1) | instid1(VALU_DEP_4)
	v_pk_mul_f32 v[14:15], v[32:33], v[14:15]
	v_mov_b32_e32 v22, s15
	v_pk_add_f32 v[10:11], v[30:31], v[10:11]
	s_delay_alu instid0(VALU_DEP_4) | instskip(SKIP_1) | instid1(VALU_DEP_2)
	v_dual_add_f32 v3, v3, v23 :: v_dual_mov_b32 v23, s19
	v_pk_add_f32 v[16:17], v[18:19], v[20:21] neg_lo:[0,1] neg_hi:[0,1]
	v_dual_add_f32 v3, v3, v14 :: v_dual_mov_b32 v14, 2.0
	s_delay_alu instid0(VALU_DEP_3) | instskip(NEXT) | instid1(VALU_DEP_2)
	v_pk_mul_f32 v[10:11], v[22:23], v[10:11]
	v_dual_add_f32 v12, v3, v15 :: v_dual_mov_b32 v3, 1.0
	s_delay_alu instid0(VALU_DEP_1) | instskip(SKIP_1) | instid1(VALU_DEP_1)
	v_dual_add_f32 v22, v12, v10 :: v_dual_mov_b32 v10, v27
	s_wait_loadcnt 0x7
	v_dual_add_f32 v18, v22, v11 :: v_dual_mov_b32 v15, v1
	s_delay_alu instid0(VALU_DEP_1) | instskip(SKIP_2) | instid1(VALU_DEP_3)
	v_pk_mul_f32 v[12:13], v[0:1], v[14:15] op_sel:[1,0]
	v_dual_mov_b32 v14, v29 :: v_dual_mov_b32 v11, v2
	s_wait_loadcnt 0x2
	v_dual_mov_b32 v15, v0 :: v_dual_add_f32 v0, v18, v44
	v_pk_add_f32 v[8:9], v[8:9], v[24:25] neg_lo:[0,1] neg_hi:[0,1]
	v_add_f32_e32 v2, 2.0, v12
	v_mov_b64_e32 v[18:19], s[4:5]
	s_delay_alu instid0(VALU_DEP_4) | instskip(NEXT) | instid1(VALU_DEP_4)
	v_pk_add_f32 v[10:11], v[10:11], v[14:15] neg_lo:[0,1] neg_hi:[0,1]
	v_pk_mul_f32 v[8:9], v[16:17], v[8:9]
	s_wait_loadcnt 0x0
	v_dual_sub_f32 v20, v2, v13 :: v_dual_fma_f32 v2, v45, v0, -v46
	s_delay_alu instid0(VALU_DEP_3) | instskip(NEXT) | instid1(VALU_DEP_2)
	v_dual_mul_f32 v14, v10, v11 :: v_dual_mov_b32 v13, v12
	v_dual_mul_f32 v0, s5, v9 :: v_dual_mul_f32 v12, v26, v20
	s_delay_alu instid0(VALU_DEP_1) | instskip(NEXT) | instid1(VALU_DEP_2)
	v_pk_fma_f32 v[8:9], v[18:19], v[8:9], v[0:1] op_sel_hi:[1,1,0]
	v_pk_add_f32 v[10:11], v[12:13], v[2:3]
	s_delay_alu instid0(VALU_DEP_4) | instskip(NEXT) | instid1(VALU_DEP_2)
	v_dual_mul_f32 v2, s6, v14 :: v_dual_mov_b32 v9, v1
	v_div_scale_f32 v14, vcc_lo, v10, v11, v10
	s_delay_alu instid0(VALU_DEP_2) | instskip(SKIP_1) | instid1(VALU_DEP_2)
	v_pk_add_f32 v[0:1], v[8:9], v[2:3]
	v_div_scale_f32 v2, null, v11, v11, v10
	v_sub_f32_e32 v0, v44, v0
	s_delay_alu instid0(VALU_DEP_2) | instskip(NEXT) | instid1(VALU_DEP_1)
	v_rcp_f32_e32 v8, v2
	v_div_scale_f32 v3, null, v1, v1, v0
	s_delay_alu instid0(TRANS32_DEP_1) | instskip(NEXT) | instid1(VALU_DEP_2)
	v_fma_f32 v12, -v2, v8, 1.0
	v_rcp_f32_e32 v9, v3
	v_nop
	s_delay_alu instid0(TRANS32_DEP_1) | instskip(NEXT) | instid1(VALU_DEP_1)
	v_fma_f32 v13, -v3, v9, 1.0
	v_dual_fmac_f32 v9, v13, v9 :: v_dual_fmac_f32 v8, v12, v8
	v_div_scale_f32 v12, s0, v0, v1, v0
	s_delay_alu instid0(VALU_DEP_1) | instskip(NEXT) | instid1(VALU_DEP_1)
	v_dual_mul_f32 v15, v12, v9 :: v_dual_mul_f32 v13, v14, v8
	v_dual_fma_f32 v17, -v3, v15, v12 :: v_dual_fma_f32 v16, -v2, v13, v14
	s_delay_alu instid0(VALU_DEP_1) | instskip(NEXT) | instid1(VALU_DEP_1)
	v_dual_fmac_f32 v15, v17, v9 :: v_dual_fmac_f32 v13, v16, v8
	v_dual_fma_f32 v3, -v3, v15, v12 :: v_dual_fma_f32 v2, -v2, v13, v14
	s_delay_alu instid0(VALU_DEP_1) | instskip(SKIP_1) | instid1(VALU_DEP_2)
	v_div_fmas_f32 v2, v2, v8, v13
	s_mov_b32 vcc_lo, s0
	v_div_fmas_f32 v3, v3, v9, v15
	s_delay_alu instid0(VALU_DEP_2) | instskip(NEXT) | instid1(VALU_DEP_2)
	v_div_fixup_f32 v2, v2, v11, v10
	v_div_fixup_f32 v0, v3, v1, v0
	global_store_b32 v[6:7], v2, off
	global_store_b32 v[4:5], v0, off
.LBB1_4:
	s_endpgm
	.section	.rodata,"a",@progbits
	.p2align	6, 0x0
	.amdhsa_kernel _Z20target_pml_3d_kernelxxxiiixxxxxxxxxffffffffffffffffPKfPfS0_S1_S0_
		.amdhsa_group_segment_fixed_size 16384
		.amdhsa_private_segment_fixed_size 0
		.amdhsa_kernarg_size 472
		.amdhsa_user_sgpr_count 2
		.amdhsa_user_sgpr_dispatch_ptr 0
		.amdhsa_user_sgpr_queue_ptr 0
		.amdhsa_user_sgpr_kernarg_segment_ptr 1
		.amdhsa_user_sgpr_dispatch_id 0
		.amdhsa_user_sgpr_kernarg_preload_length 0
		.amdhsa_user_sgpr_kernarg_preload_offset 0
		.amdhsa_user_sgpr_private_segment_size 0
		.amdhsa_wavefront_size32 1
		.amdhsa_uses_dynamic_stack 0
		.amdhsa_enable_private_segment 0
		.amdhsa_system_sgpr_workgroup_id_x 1
		.amdhsa_system_sgpr_workgroup_id_y 1
		.amdhsa_system_sgpr_workgroup_id_z 1
		.amdhsa_system_sgpr_workgroup_info 0
		.amdhsa_system_vgpr_workitem_id 2
		.amdhsa_next_free_vgpr 47
		.amdhsa_next_free_sgpr 31
		.amdhsa_named_barrier_count 0
		.amdhsa_reserve_vcc 1
		.amdhsa_float_round_mode_32 0
		.amdhsa_float_round_mode_16_64 0
		.amdhsa_float_denorm_mode_32 3
		.amdhsa_float_denorm_mode_16_64 3
		.amdhsa_fp16_overflow 0
		.amdhsa_memory_ordered 1
		.amdhsa_forward_progress 1
		.amdhsa_inst_pref_size 16
		.amdhsa_round_robin_scheduling 0
		.amdhsa_exception_fp_ieee_invalid_op 0
		.amdhsa_exception_fp_denorm_src 0
		.amdhsa_exception_fp_ieee_div_zero 0
		.amdhsa_exception_fp_ieee_overflow 0
		.amdhsa_exception_fp_ieee_underflow 0
		.amdhsa_exception_fp_ieee_inexact 0
		.amdhsa_exception_int_div_zero 0
	.end_amdhsa_kernel
	.text
.Lfunc_end1:
	.size	_Z20target_pml_3d_kernelxxxiiixxxxxxxxxffffffffffffffffPKfPfS0_S1_S0_, .Lfunc_end1-_Z20target_pml_3d_kernelxxxiiixxxxxxxxxffffffffffffffffPKfPfS0_S1_S0_
                                        ; -- End function
	.set _Z20target_pml_3d_kernelxxxiiixxxxxxxxxffffffffffffffffPKfPfS0_S1_S0_.num_vgpr, 47
	.set _Z20target_pml_3d_kernelxxxiiixxxxxxxxxffffffffffffffffPKfPfS0_S1_S0_.num_agpr, 0
	.set _Z20target_pml_3d_kernelxxxiiixxxxxxxxxffffffffffffffffPKfPfS0_S1_S0_.numbered_sgpr, 31
	.set _Z20target_pml_3d_kernelxxxiiixxxxxxxxxffffffffffffffffPKfPfS0_S1_S0_.num_named_barrier, 0
	.set _Z20target_pml_3d_kernelxxxiiixxxxxxxxxffffffffffffffffPKfPfS0_S1_S0_.private_seg_size, 0
	.set _Z20target_pml_3d_kernelxxxiiixxxxxxxxxffffffffffffffffPKfPfS0_S1_S0_.uses_vcc, 1
	.set _Z20target_pml_3d_kernelxxxiiixxxxxxxxxffffffffffffffffPKfPfS0_S1_S0_.uses_flat_scratch, 0
	.set _Z20target_pml_3d_kernelxxxiiixxxxxxxxxffffffffffffffffPKfPfS0_S1_S0_.has_dyn_sized_stack, 0
	.set _Z20target_pml_3d_kernelxxxiiixxxxxxxxxffffffffffffffffPKfPfS0_S1_S0_.has_recursion, 0
	.set _Z20target_pml_3d_kernelxxxiiixxxxxxxxxffffffffffffffffPKfPfS0_S1_S0_.has_indirect_call, 0
	.section	.AMDGPU.csdata,"",@progbits
; Kernel info:
; codeLenInByte = 2000
; TotalNumSgprs: 33
; NumVgprs: 47
; ScratchSize: 0
; MemoryBound: 0
; FloatMode: 240
; IeeeMode: 1
; LDSByteSize: 16384 bytes/workgroup (compile time only)
; SGPRBlocks: 0
; VGPRBlocks: 2
; NumSGPRsForWavesPerEU: 33
; NumVGPRsForWavesPerEU: 47
; NamedBarCnt: 0
; Occupancy: 16
; WaveLimiterHint : 0
; COMPUTE_PGM_RSRC2:SCRATCH_EN: 0
; COMPUTE_PGM_RSRC2:USER_SGPR: 2
; COMPUTE_PGM_RSRC2:TRAP_HANDLER: 0
; COMPUTE_PGM_RSRC2:TGID_X_EN: 1
; COMPUTE_PGM_RSRC2:TGID_Y_EN: 1
; COMPUTE_PGM_RSRC2:TGID_Z_EN: 1
; COMPUTE_PGM_RSRC2:TIDIG_COMP_CNT: 2
	.text
	.protected	_Z24kernel_add_source_kernelPfxf ; -- Begin function _Z24kernel_add_source_kernelPfxf
	.globl	_Z24kernel_add_source_kernelPfxf
	.p2align	8
	.type	_Z24kernel_add_source_kernelPfxf,@function
_Z24kernel_add_source_kernelPfxf:       ; @_Z24kernel_add_source_kernelPfxf
; %bb.0:
	s_clause 0x1
	s_load_b128 s[4:7], s[0:1], 0x0
	s_load_b32 s2, s[0:1], 0x10
	s_wait_kmcnt 0x0
	s_lshl_b64 s[0:1], s[6:7], 2
	s_delay_alu instid0(SALU_CYCLE_1) | instskip(SKIP_3) | instid1(SALU_CYCLE_3)
	s_add_nc_u64 s[0:1], s[4:5], s[0:1]
	s_load_b32 s3, s[0:1], 0x0
	s_wait_kmcnt 0x0
	s_add_f32 s2, s2, s3
	v_dual_mov_b32 v0, 0 :: v_dual_mov_b32 v1, s2
	global_store_b32 v0, v1, s[0:1]
	s_endpgm
	.section	.rodata,"a",@progbits
	.p2align	6, 0x0
	.amdhsa_kernel _Z24kernel_add_source_kernelPfxf
		.amdhsa_group_segment_fixed_size 0
		.amdhsa_private_segment_fixed_size 0
		.amdhsa_kernarg_size 20
		.amdhsa_user_sgpr_count 2
		.amdhsa_user_sgpr_dispatch_ptr 0
		.amdhsa_user_sgpr_queue_ptr 0
		.amdhsa_user_sgpr_kernarg_segment_ptr 1
		.amdhsa_user_sgpr_dispatch_id 0
		.amdhsa_user_sgpr_kernarg_preload_length 0
		.amdhsa_user_sgpr_kernarg_preload_offset 0
		.amdhsa_user_sgpr_private_segment_size 0
		.amdhsa_wavefront_size32 1
		.amdhsa_uses_dynamic_stack 0
		.amdhsa_enable_private_segment 0
		.amdhsa_system_sgpr_workgroup_id_x 1
		.amdhsa_system_sgpr_workgroup_id_y 0
		.amdhsa_system_sgpr_workgroup_id_z 0
		.amdhsa_system_sgpr_workgroup_info 0
		.amdhsa_system_vgpr_workitem_id 0
		.amdhsa_next_free_vgpr 2
		.amdhsa_next_free_sgpr 8
		.amdhsa_named_barrier_count 0
		.amdhsa_reserve_vcc 0
		.amdhsa_float_round_mode_32 0
		.amdhsa_float_round_mode_16_64 0
		.amdhsa_float_denorm_mode_32 3
		.amdhsa_float_denorm_mode_16_64 3
		.amdhsa_fp16_overflow 0
		.amdhsa_memory_ordered 1
		.amdhsa_forward_progress 1
		.amdhsa_inst_pref_size 1
		.amdhsa_round_robin_scheduling 0
		.amdhsa_exception_fp_ieee_invalid_op 0
		.amdhsa_exception_fp_denorm_src 0
		.amdhsa_exception_fp_ieee_div_zero 0
		.amdhsa_exception_fp_ieee_overflow 0
		.amdhsa_exception_fp_ieee_underflow 0
		.amdhsa_exception_fp_ieee_inexact 0
		.amdhsa_exception_int_div_zero 0
	.end_amdhsa_kernel
	.text
.Lfunc_end2:
	.size	_Z24kernel_add_source_kernelPfxf, .Lfunc_end2-_Z24kernel_add_source_kernelPfxf
                                        ; -- End function
	.set _Z24kernel_add_source_kernelPfxf.num_vgpr, 2
	.set _Z24kernel_add_source_kernelPfxf.num_agpr, 0
	.set _Z24kernel_add_source_kernelPfxf.numbered_sgpr, 8
	.set _Z24kernel_add_source_kernelPfxf.num_named_barrier, 0
	.set _Z24kernel_add_source_kernelPfxf.private_seg_size, 0
	.set _Z24kernel_add_source_kernelPfxf.uses_vcc, 0
	.set _Z24kernel_add_source_kernelPfxf.uses_flat_scratch, 0
	.set _Z24kernel_add_source_kernelPfxf.has_dyn_sized_stack, 0
	.set _Z24kernel_add_source_kernelPfxf.has_recursion, 0
	.set _Z24kernel_add_source_kernelPfxf.has_indirect_call, 0
	.section	.AMDGPU.csdata,"",@progbits
; Kernel info:
; codeLenInByte = 76
; TotalNumSgprs: 8
; NumVgprs: 2
; ScratchSize: 0
; MemoryBound: 0
; FloatMode: 240
; IeeeMode: 1
; LDSByteSize: 0 bytes/workgroup (compile time only)
; SGPRBlocks: 0
; VGPRBlocks: 0
; NumSGPRsForWavesPerEU: 8
; NumVGPRsForWavesPerEU: 2
; NamedBarCnt: 0
; Occupancy: 16
; WaveLimiterHint : 0
; COMPUTE_PGM_RSRC2:SCRATCH_EN: 0
; COMPUTE_PGM_RSRC2:USER_SGPR: 2
; COMPUTE_PGM_RSRC2:TRAP_HANDLER: 0
; COMPUTE_PGM_RSRC2:TGID_X_EN: 1
; COMPUTE_PGM_RSRC2:TGID_Y_EN: 0
; COMPUTE_PGM_RSRC2:TGID_Z_EN: 0
; COMPUTE_PGM_RSRC2:TIDIG_COMP_CNT: 0
	.text
	.p2alignl 7, 3214868480
	.fill 96, 4, 3214868480
	.section	.AMDGPU.gpr_maximums,"",@progbits
	.set amdgpu.max_num_vgpr, 0
	.set amdgpu.max_num_agpr, 0
	.set amdgpu.max_num_sgpr, 0
	.text
	.type	__hip_cuid_2b655c131eeb091f,@object ; @__hip_cuid_2b655c131eeb091f
	.section	.bss,"aw",@nobits
	.globl	__hip_cuid_2b655c131eeb091f
__hip_cuid_2b655c131eeb091f:
	.byte	0                               ; 0x0
	.size	__hip_cuid_2b655c131eeb091f, 1

	.ident	"AMD clang version 22.0.0git (https://github.com/RadeonOpenCompute/llvm-project roc-7.2.4 26084 f58b06dce1f9c15707c5f808fd002e18c2accf7e)"
	.section	".note.GNU-stack","",@progbits
	.addrsig
	.addrsig_sym __hip_cuid_2b655c131eeb091f
	.amdgpu_metadata
---
amdhsa.kernels:
  - .args:
      - .offset:         0
        .size:           8
        .value_kind:     by_value
      - .offset:         8
        .size:           8
        .value_kind:     by_value
      - .offset:         16
        .size:           8
        .value_kind:     by_value
      - .offset:         24
        .size:           4
        .value_kind:     by_value
      - .offset:         28
        .size:           4
        .value_kind:     by_value
      - .offset:         32
        .size:           4
        .value_kind:     by_value
      - .offset:         40
        .size:           8
        .value_kind:     by_value
      - .offset:         48
        .size:           8
        .value_kind:     by_value
      - .offset:         56
        .size:           8
        .value_kind:     by_value
      - .offset:         64
        .size:           8
        .value_kind:     by_value
      - .offset:         72
        .size:           8
        .value_kind:     by_value
      - .offset:         80
        .size:           8
        .value_kind:     by_value
      - .offset:         88
        .size:           8
        .value_kind:     by_value
      - .offset:         96
        .size:           8
        .value_kind:     by_value
      - .offset:         104
        .size:           8
        .value_kind:     by_value
      - .offset:         112
        .size:           4
        .value_kind:     by_value
      - .offset:         116
        .size:           4
        .value_kind:     by_value
      - .offset:         120
        .size:           4
        .value_kind:     by_value
      - .offset:         124
        .size:           4
        .value_kind:     by_value
      - .offset:         128
        .size:           4
        .value_kind:     by_value
      - .offset:         132
        .size:           4
        .value_kind:     by_value
      - .offset:         136
        .size:           4
        .value_kind:     by_value
      - .offset:         140
        .size:           4
        .value_kind:     by_value
      - .offset:         144
        .size:           4
        .value_kind:     by_value
      - .offset:         148
        .size:           4
        .value_kind:     by_value
      - .offset:         152
        .size:           4
        .value_kind:     by_value
      - .offset:         156
        .size:           4
        .value_kind:     by_value
      - .offset:         160
        .size:           4
        .value_kind:     by_value
      - .offset:         164
        .size:           4
        .value_kind:     by_value
      - .offset:         168
        .size:           4
        .value_kind:     by_value
      - .offset:         172
        .size:           4
        .value_kind:     by_value
      - .actual_access:  read_only
        .address_space:  global
        .offset:         176
        .size:           8
        .value_kind:     global_buffer
      - .address_space:  global
        .offset:         184
        .size:           8
        .value_kind:     global_buffer
      - .actual_access:  read_only
        .address_space:  global
        .offset:         192
        .size:           8
        .value_kind:     global_buffer
      - .actual_access:  read_only
        .address_space:  global
        .offset:         200
        .size:           8
        .value_kind:     global_buffer
      - .actual_access:  read_only
        .address_space:  global
        .offset:         208
        .size:           8
        .value_kind:     global_buffer
      - .offset:         216
        .size:           4
        .value_kind:     hidden_block_count_x
      - .offset:         220
        .size:           4
        .value_kind:     hidden_block_count_y
      - .offset:         224
        .size:           4
        .value_kind:     hidden_block_count_z
      - .offset:         228
        .size:           2
        .value_kind:     hidden_group_size_x
      - .offset:         230
        .size:           2
        .value_kind:     hidden_group_size_y
      - .offset:         232
        .size:           2
        .value_kind:     hidden_group_size_z
      - .offset:         234
        .size:           2
        .value_kind:     hidden_remainder_x
      - .offset:         236
        .size:           2
        .value_kind:     hidden_remainder_y
      - .offset:         238
        .size:           2
        .value_kind:     hidden_remainder_z
      - .offset:         256
        .size:           8
        .value_kind:     hidden_global_offset_x
      - .offset:         264
        .size:           8
        .value_kind:     hidden_global_offset_y
      - .offset:         272
        .size:           8
        .value_kind:     hidden_global_offset_z
      - .offset:         280
        .size:           2
        .value_kind:     hidden_grid_dims
    .group_segment_fixed_size: 16384
    .kernarg_segment_align: 8
    .kernarg_segment_size: 472
    .language:       OpenCL C
    .language_version:
      - 2
      - 0
    .max_flat_workgroup_size: 1024
    .name:           _Z22target_inner_3d_kernelxxxiiixxxxxxxxxffffffffffffffffPKfPfS0_S0_S0_
    .private_segment_fixed_size: 0
    .sgpr_count:     33
    .sgpr_spill_count: 0
    .symbol:         _Z22target_inner_3d_kernelxxxiiixxxxxxxxxffffffffffffffffPKfPfS0_S0_S0_.kd
    .uniform_work_group_size: 1
    .uses_dynamic_stack: false
    .vgpr_count:     33
    .vgpr_spill_count: 0
    .wavefront_size: 32
  - .args:
      - .offset:         0
        .size:           8
        .value_kind:     by_value
      - .offset:         8
        .size:           8
        .value_kind:     by_value
      - .offset:         16
        .size:           8
        .value_kind:     by_value
      - .offset:         24
        .size:           4
        .value_kind:     by_value
      - .offset:         28
        .size:           4
        .value_kind:     by_value
      - .offset:         32
        .size:           4
        .value_kind:     by_value
      - .offset:         40
        .size:           8
        .value_kind:     by_value
      - .offset:         48
        .size:           8
        .value_kind:     by_value
      - .offset:         56
        .size:           8
        .value_kind:     by_value
      - .offset:         64
        .size:           8
        .value_kind:     by_value
      - .offset:         72
        .size:           8
        .value_kind:     by_value
      - .offset:         80
        .size:           8
        .value_kind:     by_value
      - .offset:         88
        .size:           8
        .value_kind:     by_value
      - .offset:         96
        .size:           8
        .value_kind:     by_value
      - .offset:         104
        .size:           8
        .value_kind:     by_value
      - .offset:         112
        .size:           4
        .value_kind:     by_value
      - .offset:         116
        .size:           4
        .value_kind:     by_value
      - .offset:         120
        .size:           4
        .value_kind:     by_value
      - .offset:         124
        .size:           4
        .value_kind:     by_value
      - .offset:         128
        .size:           4
        .value_kind:     by_value
      - .offset:         132
        .size:           4
        .value_kind:     by_value
      - .offset:         136
        .size:           4
        .value_kind:     by_value
      - .offset:         140
        .size:           4
        .value_kind:     by_value
      - .offset:         144
        .size:           4
        .value_kind:     by_value
      - .offset:         148
        .size:           4
        .value_kind:     by_value
      - .offset:         152
        .size:           4
        .value_kind:     by_value
      - .offset:         156
        .size:           4
        .value_kind:     by_value
      - .offset:         160
        .size:           4
        .value_kind:     by_value
      - .offset:         164
        .size:           4
        .value_kind:     by_value
      - .offset:         168
        .size:           4
        .value_kind:     by_value
      - .offset:         172
        .size:           4
        .value_kind:     by_value
      - .actual_access:  read_only
        .address_space:  global
        .offset:         176
        .size:           8
        .value_kind:     global_buffer
      - .address_space:  global
        .offset:         184
        .size:           8
        .value_kind:     global_buffer
      - .actual_access:  read_only
        .address_space:  global
        .offset:         192
        .size:           8
        .value_kind:     global_buffer
      - .address_space:  global
        .offset:         200
        .size:           8
        .value_kind:     global_buffer
      - .actual_access:  read_only
        .address_space:  global
        .offset:         208
        .size:           8
        .value_kind:     global_buffer
      - .offset:         216
        .size:           4
        .value_kind:     hidden_block_count_x
      - .offset:         220
        .size:           4
        .value_kind:     hidden_block_count_y
      - .offset:         224
        .size:           4
        .value_kind:     hidden_block_count_z
      - .offset:         228
        .size:           2
        .value_kind:     hidden_group_size_x
      - .offset:         230
        .size:           2
        .value_kind:     hidden_group_size_y
      - .offset:         232
        .size:           2
        .value_kind:     hidden_group_size_z
      - .offset:         234
        .size:           2
        .value_kind:     hidden_remainder_x
      - .offset:         236
        .size:           2
        .value_kind:     hidden_remainder_y
      - .offset:         238
        .size:           2
        .value_kind:     hidden_remainder_z
      - .offset:         256
        .size:           8
        .value_kind:     hidden_global_offset_x
      - .offset:         264
        .size:           8
        .value_kind:     hidden_global_offset_y
      - .offset:         272
        .size:           8
        .value_kind:     hidden_global_offset_z
      - .offset:         280
        .size:           2
        .value_kind:     hidden_grid_dims
    .group_segment_fixed_size: 16384
    .kernarg_segment_align: 8
    .kernarg_segment_size: 472
    .language:       OpenCL C
    .language_version:
      - 2
      - 0
    .max_flat_workgroup_size: 1024
    .name:           _Z20target_pml_3d_kernelxxxiiixxxxxxxxxffffffffffffffffPKfPfS0_S1_S0_
    .private_segment_fixed_size: 0
    .sgpr_count:     33
    .sgpr_spill_count: 0
    .symbol:         _Z20target_pml_3d_kernelxxxiiixxxxxxxxxffffffffffffffffPKfPfS0_S1_S0_.kd
    .uniform_work_group_size: 1
    .uses_dynamic_stack: false
    .vgpr_count:     47
    .vgpr_spill_count: 0
    .wavefront_size: 32
  - .args:
      - .address_space:  global
        .offset:         0
        .size:           8
        .value_kind:     global_buffer
      - .offset:         8
        .size:           8
        .value_kind:     by_value
      - .offset:         16
        .size:           4
        .value_kind:     by_value
    .group_segment_fixed_size: 0
    .kernarg_segment_align: 8
    .kernarg_segment_size: 20
    .language:       OpenCL C
    .language_version:
      - 2
      - 0
    .max_flat_workgroup_size: 1024
    .name:           _Z24kernel_add_source_kernelPfxf
    .private_segment_fixed_size: 0
    .sgpr_count:     8
    .sgpr_spill_count: 0
    .symbol:         _Z24kernel_add_source_kernelPfxf.kd
    .uniform_work_group_size: 1
    .uses_dynamic_stack: false
    .vgpr_count:     2
    .vgpr_spill_count: 0
    .wavefront_size: 32
amdhsa.target:   amdgcn-amd-amdhsa--gfx1250
amdhsa.version:
  - 1
  - 2
...

	.end_amdgpu_metadata
